;; amdgpu-corpus repo=zjin-lcf/HeCBench kind=compiled arch=gfx906 opt=O3
	.amdgcn_target "amdgcn-amd-amdhsa--gfx906"
	.amdhsa_code_object_version 6
	.text
	.protected	_Z2mdPK7box_strPK11FOUR_VECTORPKfPS2_fi ; -- Begin function _Z2mdPK7box_strPK11FOUR_VECTORPKfPS2_fi
	.globl	_Z2mdPK7box_strPK11FOUR_VECTORPKfPS2_fi
	.p2align	8
	.type	_Z2mdPK7box_strPK11FOUR_VECTORPKfPS2_fi,@function
_Z2mdPK7box_strPK11FOUR_VECTORPKfPS2_fi: ; @_Z2mdPK7box_strPK11FOUR_VECTORPKfPS2_fi
; %bb.0:
	s_load_dwordx2 s[2:3], s[4:5], 0x20
	s_waitcnt lgkmcnt(0)
	s_cmp_ge_i32 s6, s3
	s_cbranch_scc1 .LBB0_14
; %bb.1:
	s_load_dwordx8 s[12:19], s[4:5], 0x0
	s_mul_i32 s1, s6, 0x290
	s_mul_hi_i32 s0, s6, 0x290
	v_lshlrev_b32_e32 v13, 4, v0
	s_waitcnt lgkmcnt(0)
	s_add_u32 s20, s12, s1
	s_addc_u32 s21, s13, s0
	s_load_dword s0, s[20:21], 0x10
	s_movk_i32 s1, 0x64
	v_cmp_gt_u32_e32 vcc, s1, v0
	s_waitcnt lgkmcnt(0)
	v_add_u32_e32 v1, s0, v0
	v_ashrrev_i32_e32 v2, 31, v1
	s_and_saveexec_b64 s[4:5], vcc
	s_cbranch_execz .LBB0_3
; %bb.2:
	v_lshlrev_b64 v[3:4], 4, v[1:2]
	v_mov_b32_e32 v5, s15
	v_add_co_u32_e64 v3, s[0:1], s14, v3
	v_addc_co_u32_e64 v4, s[0:1], v5, v4, s[0:1]
	global_load_dwordx4 v[3:6], v[3:4], off
	s_waitcnt vmcnt(0)
	ds_write2_b32 v13, v5, v6 offset0:2 offset1:3
	ds_write2_b32 v13, v3, v4 offset1:1
.LBB0_3:
	s_or_b64 exec, exec, s[4:5]
	s_waitcnt lgkmcnt(0)
	s_barrier
	s_load_dword s0, s[20:21], 0x18
	s_mov_b32 s7, 0
	s_waitcnt lgkmcnt(0)
	s_cmp_lt_i32 s0, 0
	s_cbranch_scc1 .LBB0_14
; %bb.4:
	v_add_f32_e64 v3, s2, s2
	v_lshlrev_b64 v[1:2], 4, v[1:2]
	v_mul_f32_e32 v14, s2, v3
	v_mov_b32_e32 v3, 0xc80
	v_lshl_add_u32 v16, v0, 2, v3
	v_mov_b32_e32 v3, s19
	v_add_co_u32_e64 v9, s[0:1], s18, v1
	v_add_u32_e32 v15, 0x640, v13
	v_addc_co_u32_e64 v10, s[0:1], v3, v2, s[0:1]
	s_mov_b32 s22, 0x3fb8aa3b
	s_mov_b32 s23, 0xc2ce8ed0
	;; [unrolled: 1-line block ×3, first 2 shown]
	v_mov_b32_e32 v17, 0x7f800000
	s_branch .LBB0_6
.LBB0_5:                                ;   in Loop: Header=BB0_6 Depth=1
	s_or_b64 exec, exec, s[18:19]
	s_waitcnt vmcnt(0)
	s_barrier
	s_load_dword s0, s[20:21], 0x18
	s_add_i32 s1, s7, 1
	s_waitcnt lgkmcnt(0)
	s_cmp_lt_i32 s7, s0
	s_mov_b32 s7, s1
	s_cbranch_scc0 .LBB0_14
.LBB0_6:                                ; =>This Loop Header: Depth=1
                                        ;     Child Loop BB0_12 Depth 2
	s_cmp_eq_u32 s7, 0
	s_mov_b32 s0, s6
	s_cbranch_scc1 .LBB0_8
; %bb.7:                                ;   in Loop: Header=BB0_6 Depth=1
	s_mul_i32 s0, s7, 24
	s_mul_hi_u32 s1, s7, 24
	s_add_u32 s0, s20, s0
	s_addc_u32 s1, s21, s1
	s_load_dword s0, s[0:1], 0x14
.LBB0_8:                                ;   in Loop: Header=BB0_6 Depth=1
	s_and_saveexec_b64 s[2:3], vcc
	s_cbranch_execz .LBB0_10
; %bb.9:                                ;   in Loop: Header=BB0_6 Depth=1
	s_waitcnt lgkmcnt(0)
	s_mul_hi_i32 s1, s0, 0x290
	s_mulk_i32 s0, 0x290
	s_add_u32 s0, s12, s0
	s_addc_u32 s1, s13, s1
	s_load_dword s0, s[0:1], 0x10
	v_mov_b32_e32 v3, s15
	v_mov_b32_e32 v7, s17
	s_waitcnt lgkmcnt(0)
	v_add_u32_e32 v5, s0, v0
	v_ashrrev_i32_e32 v6, 31, v5
	v_lshlrev_b64 v[1:2], 4, v[5:6]
	v_lshlrev_b64 v[5:6], 2, v[5:6]
	v_add_co_u32_e64 v1, s[0:1], s14, v1
	v_addc_co_u32_e64 v2, s[0:1], v3, v2, s[0:1]
	global_load_dwordx4 v[1:4], v[1:2], off
	v_add_co_u32_e64 v5, s[0:1], s16, v5
	v_addc_co_u32_e64 v6, s[0:1], v7, v6, s[0:1]
	global_load_dword v5, v[5:6], off
	s_waitcnt vmcnt(1)
	ds_write2_b32 v15, v3, v4 offset0:2 offset1:3
	ds_write2_b32 v15, v1, v2 offset1:1
	s_waitcnt vmcnt(0)
	ds_write_b32 v16, v5
.LBB0_10:                               ;   in Loop: Header=BB0_6 Depth=1
	s_or_b64 exec, exec, s[2:3]
	s_waitcnt lgkmcnt(0)
	s_barrier
	s_and_saveexec_b64 s[18:19], vcc
	s_cbranch_execz .LBB0_5
; %bb.11:                               ;   in Loop: Header=BB0_6 Depth=1
	global_load_dwordx4 v[1:4], v[9:10], off
	ds_read_b128 v[5:8], v13
	s_mov_b32 s25, 0
	s_movk_i32 s26, 0xf9c0
.LBB0_12:                               ;   Parent Loop BB0_6 Depth=1
                                        ; =>  This Inner Loop Header: Depth=2
	v_mov_b32_e32 v11, s26
	s_add_i32 s0, s25, 0xc80
	ds_read_b128 v[18:21], v11 offset:3200
	ds_read_b128 v[22:25], v11 offset:3216
	;; [unrolled: 1-line block ×4, first 2 shown]
	v_mov_b32_e32 v12, s0
	ds_read_b128 v[34:37], v11 offset:3264
	ds_read2_b32 v[11:12], v12 offset1:1
	s_waitcnt lgkmcnt(5)
	v_mul_f32_e32 v39, v7, v20
	s_waitcnt lgkmcnt(3)
	v_mul_f32_e32 v45, v7, v28
	v_mul_f32_e32 v42, v7, v24
	v_fmac_f32_e32 v45, v6, v27
	v_sub_f32_e32 v40, v6, v19
	v_sub_f32_e32 v43, v6, v23
	v_fmac_f32_e32 v39, v6, v19
	v_add_f32_e32 v19, v5, v26
	v_sub_f32_e32 v26, v7, v28
	v_sub_f32_e32 v28, v8, v29
	v_fmac_f32_e32 v42, v6, v23
	s_waitcnt lgkmcnt(2)
	v_mul_f32_e32 v23, v7, v32
	v_fmac_f32_e32 v45, v8, v29
	s_waitcnt lgkmcnt(1)
	v_mul_f32_e32 v29, v7, v36
	v_add_f32_e32 v18, v5, v18
	v_fmac_f32_e32 v39, v8, v21
	v_fmac_f32_e32 v23, v6, v31
	;; [unrolled: 1-line block ×3, first 2 shown]
	v_sub_f32_e32 v44, v8, v25
	v_fmac_f32_e32 v42, v8, v25
	v_add_f32_e32 v25, v5, v30
	v_add_f32_e32 v34, v5, v34
	v_fmac_f32_e32 v23, v8, v33
	v_fmac_f32_e32 v29, v8, v37
	v_sub_f32_e32 v18, v18, v39
	v_add_f32_e32 v22, v5, v22
	v_sub_f32_e32 v23, v25, v23
	v_sub_f32_e32 v25, v34, v29
	v_mul_f32_e64 v29, v14, -v18
	v_sub_f32_e32 v22, v22, v42
	v_mul_f32_e32 v18, 0x3fb8aa3b, v29
	v_sub_f32_e32 v19, v19, v45
	v_mul_f32_e64 v22, v14, -v22
	v_fma_f32 v39, v29, s22, -v18
	v_rndne_f32_e32 v49, v18
	v_mul_f32_e64 v34, v14, -v19
	v_mul_f32_e32 v19, 0x3fb8aa3b, v22
	v_fmac_f32_e32 v39, 0x32a5705f, v29
	v_sub_f32_e32 v18, v18, v49
	v_sub_f32_e32 v46, v6, v35
	v_mul_f32_e32 v35, 0x3fb8aa3b, v34
	v_fma_f32 v42, v22, s22, -v19
	v_add_f32_e32 v18, v18, v39
	v_rndne_f32_e32 v39, v19
	v_mul_f32_e64 v23, v14, -v23
	v_fma_f32 v45, v34, s22, -v35
	v_fmac_f32_e32 v42, 0x32a5705f, v22
	v_sub_f32_e32 v19, v19, v39
	v_rndne_f32_e32 v50, v35
	v_sub_f32_e32 v30, v6, v31
	v_sub_f32_e32 v31, v7, v36
	v_mul_f32_e32 v36, 0x3fb8aa3b, v23
	v_add_f32_e32 v42, v19, v42
	v_fmac_f32_e32 v45, 0x32a5705f, v34
	v_sub_f32_e32 v19, v35, v50
	v_mul_f32_e64 v25, v14, -v25
	v_fma_f32 v47, v23, s22, -v36
	v_add_f32_e32 v35, v19, v45
	v_rndne_f32_e32 v45, v36
	v_sub_f32_e32 v41, v8, v21
	v_sub_f32_e32 v21, v6, v27
	;; [unrolled: 1-line block ×4, first 2 shown]
	v_mul_f32_e32 v37, 0x3fb8aa3b, v25
	v_fmac_f32_e32 v47, 0x32a5705f, v23
	v_sub_f32_e32 v19, v36, v45
	v_fma_f32 v48, v25, s22, -v37
	v_add_f32_e32 v36, v19, v47
	v_rndne_f32_e32 v47, v37
	v_fmac_f32_e32 v48, 0x32a5705f, v25
	v_sub_f32_e32 v19, v37, v47
	v_add_f32_e32 v37, v19, v48
	v_cvt_i32_f32_e32 v48, v49
	v_exp_f32_e32 v18, v18
	v_cvt_i32_f32_e32 v39, v39
	v_cvt_i32_f32_e32 v49, v50
	;; [unrolled: 1-line block ×4, first 2 shown]
	v_exp_f32_e32 v42, v42
	v_exp_f32_e32 v35, v35
	;; [unrolled: 1-line block ×4, first 2 shown]
	s_add_i32 s1, s25, 0xc88
	v_mov_b32_e32 v19, s1
	v_ldexp_f32 v48, v18, v48
	v_cmp_ngt_f32_e64 s[0:1], s23, v29
	v_ldexp_f32 v35, v35, v49
	v_cmp_ngt_f32_e64 s[2:3], s23, v34
	;; [unrolled: 2-line block ×5, first 2 shown]
	v_cndmask_b32_e64 v39, 0, v39, s[10:11]
	v_cmp_nlt_f32_e64 s[10:11], s24, v22
	v_cndmask_b32_e64 v22, 0, v35, s[2:3]
	v_cmp_nlt_f32_e64 s[2:3], s24, v34
	;; [unrolled: 2-line block ×5, first 2 shown]
	v_mov_b32_e32 v38, s25
	v_cndmask_b32_e64 v25, v17, v25, s[0:1]
	v_sub_f32_e32 v20, v7, v20
	ds_read2_b32 v[18:19], v19 offset1:1
	ds_read_b32 v38, v38 offset:3216
	v_cndmask_b32_e64 v29, v17, v39, s[10:11]
	s_waitcnt vmcnt(0) lgkmcnt(2)
	v_fmac_f32_e32 v1, v11, v25
	v_add_f32_e32 v25, v25, v25
	v_sub_f32_e32 v24, v7, v24
	v_cndmask_b32_e64 v22, v17, v22, s[2:3]
	v_add_f32_e32 v35, v29, v29
	v_mul_f32_e32 v40, v40, v25
	v_mul_f32_e32 v20, v20, v25
	;; [unrolled: 1-line block ×3, first 2 shown]
	v_cndmask_b32_e64 v34, v17, v34, s[4:5]
	v_add_f32_e32 v36, v22, v22
	v_mul_f32_e32 v41, v43, v35
	v_mul_f32_e32 v24, v24, v35
	;; [unrolled: 1-line block ×3, first 2 shown]
	v_fmac_f32_e32 v2, v11, v40
	v_fmac_f32_e32 v3, v11, v20
	;; [unrolled: 1-line block ×3, first 2 shown]
	v_sub_f32_e32 v32, v7, v32
	v_cndmask_b32_e64 v23, v17, v23, s[8:9]
	v_add_f32_e32 v37, v34, v34
	v_fmac_f32_e32 v1, v12, v29
	v_mul_f32_e32 v21, v21, v36
	v_mul_f32_e32 v26, v26, v36
	;; [unrolled: 1-line block ×3, first 2 shown]
	v_fmac_f32_e32 v2, v12, v41
	v_fmac_f32_e32 v3, v12, v24
	;; [unrolled: 1-line block ×3, first 2 shown]
	v_add_f32_e32 v39, v23, v23
	v_mul_f32_e32 v29, v30, v37
	v_mul_f32_e32 v30, v32, v37
	;; [unrolled: 1-line block ×3, first 2 shown]
	s_waitcnt lgkmcnt(1)
	v_fmac_f32_e32 v1, v18, v22
	v_fmac_f32_e32 v2, v18, v21
	;; [unrolled: 1-line block ×4, first 2 shown]
	s_add_i32 s25, s25, 20
	s_addk_i32 s26, 0x50
	v_mul_f32_e32 v32, v46, v39
	v_mul_f32_e32 v31, v31, v39
	;; [unrolled: 1-line block ×3, first 2 shown]
	v_fmac_f32_e32 v1, v19, v34
	v_fmac_f32_e32 v2, v19, v29
	;; [unrolled: 1-line block ×4, first 2 shown]
	s_cmpk_lg_i32 s25, 0x190
	s_waitcnt lgkmcnt(0)
	v_fmac_f32_e32 v1, v38, v23
	v_fmac_f32_e32 v2, v38, v32
	;; [unrolled: 1-line block ×4, first 2 shown]
	s_cbranch_scc1 .LBB0_12
; %bb.13:                               ;   in Loop: Header=BB0_6 Depth=1
	global_store_dwordx4 v[9:10], v[1:4], off
	s_branch .LBB0_5
.LBB0_14:
	s_endpgm
	.section	.rodata,"a",@progbits
	.p2align	6, 0x0
	.amdhsa_kernel _Z2mdPK7box_strPK11FOUR_VECTORPKfPS2_fi
		.amdhsa_group_segment_fixed_size 3600
		.amdhsa_private_segment_fixed_size 0
		.amdhsa_kernarg_size 40
		.amdhsa_user_sgpr_count 6
		.amdhsa_user_sgpr_private_segment_buffer 1
		.amdhsa_user_sgpr_dispatch_ptr 0
		.amdhsa_user_sgpr_queue_ptr 0
		.amdhsa_user_sgpr_kernarg_segment_ptr 1
		.amdhsa_user_sgpr_dispatch_id 0
		.amdhsa_user_sgpr_flat_scratch_init 0
		.amdhsa_user_sgpr_private_segment_size 0
		.amdhsa_uses_dynamic_stack 0
		.amdhsa_system_sgpr_private_segment_wavefront_offset 0
		.amdhsa_system_sgpr_workgroup_id_x 1
		.amdhsa_system_sgpr_workgroup_id_y 0
		.amdhsa_system_sgpr_workgroup_id_z 0
		.amdhsa_system_sgpr_workgroup_info 0
		.amdhsa_system_vgpr_workitem_id 0
		.amdhsa_next_free_vgpr 51
		.amdhsa_next_free_sgpr 61
		.amdhsa_reserve_vcc 1
		.amdhsa_reserve_flat_scratch 0
		.amdhsa_float_round_mode_32 0
		.amdhsa_float_round_mode_16_64 0
		.amdhsa_float_denorm_mode_32 3
		.amdhsa_float_denorm_mode_16_64 3
		.amdhsa_dx10_clamp 1
		.amdhsa_ieee_mode 1
		.amdhsa_fp16_overflow 0
		.amdhsa_exception_fp_ieee_invalid_op 0
		.amdhsa_exception_fp_denorm_src 0
		.amdhsa_exception_fp_ieee_div_zero 0
		.amdhsa_exception_fp_ieee_overflow 0
		.amdhsa_exception_fp_ieee_underflow 0
		.amdhsa_exception_fp_ieee_inexact 0
		.amdhsa_exception_int_div_zero 0
	.end_amdhsa_kernel
	.text
.Lfunc_end0:
	.size	_Z2mdPK7box_strPK11FOUR_VECTORPKfPS2_fi, .Lfunc_end0-_Z2mdPK7box_strPK11FOUR_VECTORPKfPS2_fi
                                        ; -- End function
	.set _Z2mdPK7box_strPK11FOUR_VECTORPKfPS2_fi.num_vgpr, 51
	.set _Z2mdPK7box_strPK11FOUR_VECTORPKfPS2_fi.num_agpr, 0
	.set _Z2mdPK7box_strPK11FOUR_VECTORPKfPS2_fi.numbered_sgpr, 27
	.set _Z2mdPK7box_strPK11FOUR_VECTORPKfPS2_fi.num_named_barrier, 0
	.set _Z2mdPK7box_strPK11FOUR_VECTORPKfPS2_fi.private_seg_size, 0
	.set _Z2mdPK7box_strPK11FOUR_VECTORPKfPS2_fi.uses_vcc, 1
	.set _Z2mdPK7box_strPK11FOUR_VECTORPKfPS2_fi.uses_flat_scratch, 0
	.set _Z2mdPK7box_strPK11FOUR_VECTORPKfPS2_fi.has_dyn_sized_stack, 0
	.set _Z2mdPK7box_strPK11FOUR_VECTORPKfPS2_fi.has_recursion, 0
	.set _Z2mdPK7box_strPK11FOUR_VECTORPKfPS2_fi.has_indirect_call, 0
	.section	.AMDGPU.csdata,"",@progbits
; Kernel info:
; codeLenInByte = 1500
; TotalNumSgprs: 31
; NumVgprs: 51
; ScratchSize: 0
; MemoryBound: 0
; FloatMode: 240
; IeeeMode: 1
; LDSByteSize: 3600 bytes/workgroup (compile time only)
; SGPRBlocks: 8
; VGPRBlocks: 12
; NumSGPRsForWavesPerEU: 65
; NumVGPRsForWavesPerEU: 51
; Occupancy: 4
; WaveLimiterHint : 1
; COMPUTE_PGM_RSRC2:SCRATCH_EN: 0
; COMPUTE_PGM_RSRC2:USER_SGPR: 6
; COMPUTE_PGM_RSRC2:TRAP_HANDLER: 0
; COMPUTE_PGM_RSRC2:TGID_X_EN: 1
; COMPUTE_PGM_RSRC2:TGID_Y_EN: 0
; COMPUTE_PGM_RSRC2:TGID_Z_EN: 0
; COMPUTE_PGM_RSRC2:TIDIG_COMP_CNT: 0
	.section	.AMDGPU.gpr_maximums,"",@progbits
	.set amdgpu.max_num_vgpr, 0
	.set amdgpu.max_num_agpr, 0
	.set amdgpu.max_num_sgpr, 0
	.section	.AMDGPU.csdata,"",@progbits
	.type	__hip_cuid_fead24f92e397c85,@object ; @__hip_cuid_fead24f92e397c85
	.section	.bss,"aw",@nobits
	.globl	__hip_cuid_fead24f92e397c85
__hip_cuid_fead24f92e397c85:
	.byte	0                               ; 0x0
	.size	__hip_cuid_fead24f92e397c85, 1

	.ident	"AMD clang version 22.0.0git (https://github.com/RadeonOpenCompute/llvm-project roc-7.2.4 26084 f58b06dce1f9c15707c5f808fd002e18c2accf7e)"
	.section	".note.GNU-stack","",@progbits
	.addrsig
	.addrsig_sym __hip_cuid_fead24f92e397c85
	.amdgpu_metadata
---
amdhsa.kernels:
  - .args:
      - .address_space:  global
        .offset:         0
        .size:           8
        .value_kind:     global_buffer
      - .address_space:  global
        .offset:         8
        .size:           8
        .value_kind:     global_buffer
      - .address_space:  global
        .offset:         16
        .size:           8
        .value_kind:     global_buffer
      - .address_space:  global
        .offset:         24
        .size:           8
        .value_kind:     global_buffer
      - .offset:         32
        .size:           4
        .value_kind:     by_value
      - .offset:         36
        .size:           4
        .value_kind:     by_value
    .group_segment_fixed_size: 3600
    .kernarg_segment_align: 8
    .kernarg_segment_size: 40
    .language:       OpenCL C
    .language_version:
      - 2
      - 0
    .max_flat_workgroup_size: 1024
    .name:           _Z2mdPK7box_strPK11FOUR_VECTORPKfPS2_fi
    .private_segment_fixed_size: 0
    .sgpr_count:     31
    .sgpr_spill_count: 0
    .symbol:         _Z2mdPK7box_strPK11FOUR_VECTORPKfPS2_fi.kd
    .uniform_work_group_size: 1
    .uses_dynamic_stack: false
    .vgpr_count:     51
    .vgpr_spill_count: 0
    .wavefront_size: 64
amdhsa.target:   amdgcn-amd-amdhsa--gfx906
amdhsa.version:
  - 1
  - 2
...

	.end_amdgpu_metadata
